;; amdgpu-corpus repo=zjin-lcf/HeCBench kind=compiled arch=gfx950 opt=O3
	.amdgcn_target "amdgcn-amd-amdhsa--gfx950"
	.amdhsa_code_object_version 6
	.text
	.protected	_Z8sumArrayfiPKfPf      ; -- Begin function _Z8sumArrayfiPKfPf
	.globl	_Z8sumArrayfiPKfPf
	.p2align	8
	.type	_Z8sumArrayfiPKfPf,@function
_Z8sumArrayfiPKfPf:                     ; @_Z8sumArrayfiPKfPf
; %bb.0:
	s_load_dword s3, s[0:1], 0x24
	s_load_dwordx2 s[8:9], s[0:1], 0x0
	s_add_u32 s10, s0, 24
	s_addc_u32 s11, s1, 0
	s_waitcnt lgkmcnt(0)
	s_and_b32 s3, s3, 0xffff
	s_mul_i32 s2, s2, s3
	v_add_u32_e32 v0, s2, v0
	v_cmp_gt_i32_e32 vcc, s9, v0
	s_and_saveexec_b64 s[4:5], vcc
	s_cbranch_execz .LBB0_7
; %bb.1:
	s_load_dword s2, s[10:11], 0x0
	s_load_dwordx4 s[4:7], s[0:1], 0x8
	s_mov_b64 s[0:1], 0
	v_mov_b32_e32 v2, 0
	s_waitcnt lgkmcnt(0)
	s_mul_i32 s10, s2, s3
	s_branch .LBB0_3
.LBB0_2:                                ;   in Loop: Header=BB0_3 Depth=1
	s_or_b64 exec, exec, s[2:3]
	v_add_u32_e32 v0, s10, v0
	v_cmp_le_i32_e32 vcc, s9, v0
	s_or_b64 s[0:1], vcc, s[0:1]
	s_andn2_b64 exec, exec, s[0:1]
	s_cbranch_execz .LBB0_7
.LBB0_3:                                ; =>This Loop Header: Depth=1
                                        ;     Child Loop BB0_4 Depth 2
	v_ashrrev_i32_e32 v1, 31, v0
	v_lshl_add_u64 v[4:5], v[0:1], 2, s[4:5]
	global_load_dword v1, v[4:5], off
	s_mov_b64 s[2:3], exec
	s_waitcnt vmcnt(0)
	v_add_f32_e32 v1, s8, v1
	v_subrev_f32_e32 v3, s8, v1
	v_bfrev_b32_e32 v1, 1
.LBB0_4:                                ;   Parent Loop BB0_3 Depth=1
                                        ; =>  This Inner Loop Header: Depth=2
	s_ff1_i32_b64 s11, s[2:3]
	s_lshl_b64 s[12:13], 1, s11
	v_readlane_b32 s14, v3, s11
	s_andn2_b64 s[2:3], s[2:3], s[12:13]
	s_cmp_lg_u64 s[2:3], 0
	v_add_f32_e32 v1, s14, v1
	s_cbranch_scc1 .LBB0_4
; %bb.5:                                ;   in Loop: Header=BB0_3 Depth=1
	v_mbcnt_lo_u32_b32 v3, exec_lo, 0
	v_mbcnt_hi_u32_b32 v3, exec_hi, v3
	v_cmp_eq_u32_e32 vcc, 0, v3
	s_and_saveexec_b64 s[2:3], vcc
	s_xor_b64 s[2:3], exec, s[2:3]
	s_cbranch_execz .LBB0_2
; %bb.6:                                ;   in Loop: Header=BB0_3 Depth=1
	global_atomic_add_f32 v2, v1, s[6:7]
	s_branch .LBB0_2
.LBB0_7:
	s_endpgm
	.section	.rodata,"a",@progbits
	.p2align	6, 0x0
	.amdhsa_kernel _Z8sumArrayfiPKfPf
		.amdhsa_group_segment_fixed_size 0
		.amdhsa_private_segment_fixed_size 0
		.amdhsa_kernarg_size 280
		.amdhsa_user_sgpr_count 2
		.amdhsa_user_sgpr_dispatch_ptr 0
		.amdhsa_user_sgpr_queue_ptr 0
		.amdhsa_user_sgpr_kernarg_segment_ptr 1
		.amdhsa_user_sgpr_dispatch_id 0
		.amdhsa_user_sgpr_kernarg_preload_length 0
		.amdhsa_user_sgpr_kernarg_preload_offset 0
		.amdhsa_user_sgpr_private_segment_size 0
		.amdhsa_uses_dynamic_stack 0
		.amdhsa_enable_private_segment 0
		.amdhsa_system_sgpr_workgroup_id_x 1
		.amdhsa_system_sgpr_workgroup_id_y 0
		.amdhsa_system_sgpr_workgroup_id_z 0
		.amdhsa_system_sgpr_workgroup_info 0
		.amdhsa_system_vgpr_workitem_id 0
		.amdhsa_next_free_vgpr 6
		.amdhsa_next_free_sgpr 15
		.amdhsa_accum_offset 8
		.amdhsa_reserve_vcc 1
		.amdhsa_float_round_mode_32 0
		.amdhsa_float_round_mode_16_64 0
		.amdhsa_float_denorm_mode_32 3
		.amdhsa_float_denorm_mode_16_64 3
		.amdhsa_dx10_clamp 1
		.amdhsa_ieee_mode 1
		.amdhsa_fp16_overflow 0
		.amdhsa_tg_split 0
		.amdhsa_exception_fp_ieee_invalid_op 0
		.amdhsa_exception_fp_denorm_src 0
		.amdhsa_exception_fp_ieee_div_zero 0
		.amdhsa_exception_fp_ieee_overflow 0
		.amdhsa_exception_fp_ieee_underflow 0
		.amdhsa_exception_fp_ieee_inexact 0
		.amdhsa_exception_int_div_zero 0
	.end_amdhsa_kernel
	.text
.Lfunc_end0:
	.size	_Z8sumArrayfiPKfPf, .Lfunc_end0-_Z8sumArrayfiPKfPf
                                        ; -- End function
	.set _Z8sumArrayfiPKfPf.num_vgpr, 6
	.set _Z8sumArrayfiPKfPf.num_agpr, 0
	.set _Z8sumArrayfiPKfPf.numbered_sgpr, 15
	.set _Z8sumArrayfiPKfPf.num_named_barrier, 0
	.set _Z8sumArrayfiPKfPf.private_seg_size, 0
	.set _Z8sumArrayfiPKfPf.uses_vcc, 1
	.set _Z8sumArrayfiPKfPf.uses_flat_scratch, 0
	.set _Z8sumArrayfiPKfPf.has_dyn_sized_stack, 0
	.set _Z8sumArrayfiPKfPf.has_recursion, 0
	.set _Z8sumArrayfiPKfPf.has_indirect_call, 0
	.section	.AMDGPU.csdata,"",@progbits
; Kernel info:
; codeLenInByte = 236
; TotalNumSgprs: 21
; NumVgprs: 6
; NumAgprs: 0
; TotalNumVgprs: 6
; ScratchSize: 0
; MemoryBound: 0
; FloatMode: 240
; IeeeMode: 1
; LDSByteSize: 0 bytes/workgroup (compile time only)
; SGPRBlocks: 2
; VGPRBlocks: 0
; NumSGPRsForWavesPerEU: 21
; NumVGPRsForWavesPerEU: 6
; AccumOffset: 8
; Occupancy: 8
; WaveLimiterHint : 0
; COMPUTE_PGM_RSRC2:SCRATCH_EN: 0
; COMPUTE_PGM_RSRC2:USER_SGPR: 2
; COMPUTE_PGM_RSRC2:TRAP_HANDLER: 0
; COMPUTE_PGM_RSRC2:TGID_X_EN: 1
; COMPUTE_PGM_RSRC2:TGID_Y_EN: 0
; COMPUTE_PGM_RSRC2:TGID_Z_EN: 0
; COMPUTE_PGM_RSRC2:TIDIG_COMP_CNT: 0
; COMPUTE_PGM_RSRC3_GFX90A:ACCUM_OFFSET: 1
; COMPUTE_PGM_RSRC3_GFX90A:TG_SPLIT: 0
	.text
	.protected	_Z9sumArraysiiPKfPfS0_  ; -- Begin function _Z9sumArraysiiPKfPfS0_
	.globl	_Z9sumArraysiiPKfPfS0_
	.p2align	8
	.type	_Z9sumArraysiiPKfPfS0_,@function
_Z9sumArraysiiPKfPfS0_:                 ; @_Z9sumArraysiiPKfPfS0_
; %bb.0:
	s_load_dword s3, s[0:1], 0x2c
	s_load_dwordx2 s[8:9], s[0:1], 0x0
	s_add_u32 s10, s0, 32
	s_addc_u32 s11, s1, 0
	s_waitcnt lgkmcnt(0)
	s_and_b32 s12, s3, 0xffff
	s_mul_i32 s2, s2, s12
	v_add_u32_e32 v0, s2, v0
	v_cmp_gt_i32_e32 vcc, s8, v0
	s_and_saveexec_b64 s[2:3], vcc
	s_cbranch_execz .LBB1_7
; %bb.1:
	v_cvt_f32_i32_e32 v8, s9
	s_load_dwordx4 s[4:7], s[0:1], 0x8
	s_load_dwordx2 s[2:3], s[0:1], 0x18
	s_load_dword s14, s[10:11], 0x0
	s_cmp_gt_i32 s9, 0
	v_mov_b32_e32 v2, 1.0
	v_add_f32_e32 v1, v8, v8
	s_cselect_b64 s[18:19], -1, 0
	v_fmamk_f32 v9, v1, 0xb4000000, v2
	s_mov_b32 s1, 0
	s_waitcnt lgkmcnt(0)
	s_mul_i32 s14, s14, s12
	s_add_i32 s0, s9, -1
	v_cndmask_b32_e64 v1, 0, 1, s[18:19]
	s_add_i32 s15, s9, 1
	s_lshl_b64 s[10:11], s[0:1], 2
	v_mul_lo_u32 v2, s9, v0
	s_mul_i32 s16, s14, s9
	s_mov_b64 s[12:13], 0
	v_mov_b64_e32 v[4:5], s[4:5]
	v_cmp_ne_u32_e64 s[0:1], 1, v1
	s_branch .LBB1_4
.LBB1_2:                                ;   in Loop: Header=BB1_4 Depth=1
	v_mov_b32_e32 v10, 0
.LBB1_3:                                ;   in Loop: Header=BB1_4 Depth=1
	v_mul_lo_u32 v6, v0, s9
	v_ashrrev_i32_e32 v7, 31, v6
	v_lshl_add_u64 v[4:5], v[6:7], 2, v[4:5]
	v_lshl_add_u64 v[6:7], v[0:1], 2, s[6:7]
	v_add_u32_e32 v0, s14, v0
	v_cmp_le_i32_e32 vcc, s8, v0
	s_or_b64 s[12:13], vcc, s[12:13]
	v_add_u32_e32 v2, s16, v2
	global_store_dword v[6:7], v10, off
	s_andn2_b64 exec, exec, s[12:13]
	s_cbranch_execz .LBB1_7
.LBB1_4:                                ; =>This Loop Header: Depth=1
                                        ;     Child Loop BB1_6 Depth 2
	s_and_b64 vcc, exec, s[0:1]
	v_ashrrev_i32_e32 v1, 31, v0
	s_cbranch_vccnz .LBB1_2
; %bb.5:                                ;   in Loop: Header=BB1_4 Depth=1
	v_lshl_add_u64 v[6:7], v[0:1], 2, s[2:3]
	global_load_dword v11, v[6:7], off
	v_ashrrev_i32_e32 v3, 31, v2
	v_lshl_add_u64 v[6:7], v[4:5], 0, s[10:11]
	v_lshl_add_u64 v[6:7], v[2:3], 2, v[6:7]
	v_mov_b32_e32 v10, 0
	s_waitcnt vmcnt(0)
	v_mul_f32_e32 v11, v11, v8
	v_div_scale_f32 v12, s[4:5], v9, v9, v11
	v_rcp_f32_e32 v13, v12
	v_div_scale_f32 v3, vcc, v11, v9, v11
	s_mov_b32 s4, s15
	v_fma_f32 v14, -v12, v13, 1.0
	v_fmac_f32_e32 v13, v14, v13
	v_mul_f32_e32 v14, v3, v13
	v_fma_f32 v15, -v12, v14, v3
	v_fmac_f32_e32 v14, v15, v13
	v_fma_f32 v3, -v12, v14, v3
	v_div_fmas_f32 v3, v3, v13, v14
	v_div_fixup_f32 v3, v3, v9, v11
	v_frexp_exp_i32_f32_e32 v3, v3
	v_ldexp_f32 v3, 1.0, v3
.LBB1_6:                                ;   Parent Loop BB1_4 Depth=1
                                        ; =>  This Inner Loop Header: Depth=2
	global_load_dword v11, v[6:7], off
	s_add_i32 s4, s4, -1
	v_lshl_add_u64 v[6:7], v[6:7], 0, -4
	s_cmp_lt_u32 s4, 2
	s_waitcnt vmcnt(0)
	v_add_f32_e32 v11, v3, v11
	v_sub_f32_e32 v11, v11, v3
	v_add_f32_e32 v10, v10, v11
	s_cbranch_scc0 .LBB1_6
	s_branch .LBB1_3
.LBB1_7:
	s_endpgm
	.section	.rodata,"a",@progbits
	.p2align	6, 0x0
	.amdhsa_kernel _Z9sumArraysiiPKfPfS0_
		.amdhsa_group_segment_fixed_size 0
		.amdhsa_private_segment_fixed_size 0
		.amdhsa_kernarg_size 288
		.amdhsa_user_sgpr_count 2
		.amdhsa_user_sgpr_dispatch_ptr 0
		.amdhsa_user_sgpr_queue_ptr 0
		.amdhsa_user_sgpr_kernarg_segment_ptr 1
		.amdhsa_user_sgpr_dispatch_id 0
		.amdhsa_user_sgpr_kernarg_preload_length 0
		.amdhsa_user_sgpr_kernarg_preload_offset 0
		.amdhsa_user_sgpr_private_segment_size 0
		.amdhsa_uses_dynamic_stack 0
		.amdhsa_enable_private_segment 0
		.amdhsa_system_sgpr_workgroup_id_x 1
		.amdhsa_system_sgpr_workgroup_id_y 0
		.amdhsa_system_sgpr_workgroup_id_z 0
		.amdhsa_system_sgpr_workgroup_info 0
		.amdhsa_system_vgpr_workitem_id 0
		.amdhsa_next_free_vgpr 16
		.amdhsa_next_free_sgpr 20
		.amdhsa_accum_offset 16
		.amdhsa_reserve_vcc 1
		.amdhsa_float_round_mode_32 0
		.amdhsa_float_round_mode_16_64 0
		.amdhsa_float_denorm_mode_32 3
		.amdhsa_float_denorm_mode_16_64 3
		.amdhsa_dx10_clamp 1
		.amdhsa_ieee_mode 1
		.amdhsa_fp16_overflow 0
		.amdhsa_tg_split 0
		.amdhsa_exception_fp_ieee_invalid_op 0
		.amdhsa_exception_fp_denorm_src 0
		.amdhsa_exception_fp_ieee_div_zero 0
		.amdhsa_exception_fp_ieee_overflow 0
		.amdhsa_exception_fp_ieee_underflow 0
		.amdhsa_exception_fp_ieee_inexact 0
		.amdhsa_exception_int_div_zero 0
	.end_amdhsa_kernel
	.text
.Lfunc_end1:
	.size	_Z9sumArraysiiPKfPfS0_, .Lfunc_end1-_Z9sumArraysiiPKfPfS0_
                                        ; -- End function
	.set _Z9sumArraysiiPKfPfS0_.num_vgpr, 16
	.set _Z9sumArraysiiPKfPfS0_.num_agpr, 0
	.set _Z9sumArraysiiPKfPfS0_.numbered_sgpr, 20
	.set _Z9sumArraysiiPKfPfS0_.num_named_barrier, 0
	.set _Z9sumArraysiiPKfPfS0_.private_seg_size, 0
	.set _Z9sumArraysiiPKfPfS0_.uses_vcc, 1
	.set _Z9sumArraysiiPKfPfS0_.uses_flat_scratch, 0
	.set _Z9sumArraysiiPKfPfS0_.has_dyn_sized_stack, 0
	.set _Z9sumArraysiiPKfPfS0_.has_recursion, 0
	.set _Z9sumArraysiiPKfPfS0_.has_indirect_call, 0
	.section	.AMDGPU.csdata,"",@progbits
; Kernel info:
; codeLenInByte = 436
; TotalNumSgprs: 26
; NumVgprs: 16
; NumAgprs: 0
; TotalNumVgprs: 16
; ScratchSize: 0
; MemoryBound: 0
; FloatMode: 240
; IeeeMode: 1
; LDSByteSize: 0 bytes/workgroup (compile time only)
; SGPRBlocks: 3
; VGPRBlocks: 1
; NumSGPRsForWavesPerEU: 26
; NumVGPRsForWavesPerEU: 16
; AccumOffset: 16
; Occupancy: 8
; WaveLimiterHint : 0
; COMPUTE_PGM_RSRC2:SCRATCH_EN: 0
; COMPUTE_PGM_RSRC2:USER_SGPR: 2
; COMPUTE_PGM_RSRC2:TRAP_HANDLER: 0
; COMPUTE_PGM_RSRC2:TGID_X_EN: 1
; COMPUTE_PGM_RSRC2:TGID_Y_EN: 0
; COMPUTE_PGM_RSRC2:TGID_Z_EN: 0
; COMPUTE_PGM_RSRC2:TIDIG_COMP_CNT: 0
; COMPUTE_PGM_RSRC3_GFX90A:ACCUM_OFFSET: 3
; COMPUTE_PGM_RSRC3_GFX90A:TG_SPLIT: 0
	.text
	.p2alignl 6, 3212836864
	.fill 256, 4, 3212836864
	.section	.AMDGPU.gpr_maximums,"",@progbits
	.set amdgpu.max_num_vgpr, 0
	.set amdgpu.max_num_agpr, 0
	.set amdgpu.max_num_sgpr, 0
	.text
	.type	__hip_cuid_944f74c37066fa23,@object ; @__hip_cuid_944f74c37066fa23
	.section	.bss,"aw",@nobits
	.globl	__hip_cuid_944f74c37066fa23
__hip_cuid_944f74c37066fa23:
	.byte	0                               ; 0x0
	.size	__hip_cuid_944f74c37066fa23, 1

	.ident	"AMD clang version 22.0.0git (https://github.com/RadeonOpenCompute/llvm-project roc-7.2.4 26084 f58b06dce1f9c15707c5f808fd002e18c2accf7e)"
	.section	".note.GNU-stack","",@progbits
	.addrsig
	.addrsig_sym __hip_cuid_944f74c37066fa23
	.amdgpu_metadata
---
amdhsa.kernels:
  - .agpr_count:     0
    .args:
      - .offset:         0
        .size:           4
        .value_kind:     by_value
      - .offset:         4
        .size:           4
        .value_kind:     by_value
      - .actual_access:  read_only
        .address_space:  global
        .offset:         8
        .size:           8
        .value_kind:     global_buffer
      - .address_space:  global
        .offset:         16
        .size:           8
        .value_kind:     global_buffer
      - .offset:         24
        .size:           4
        .value_kind:     hidden_block_count_x
      - .offset:         28
        .size:           4
        .value_kind:     hidden_block_count_y
      - .offset:         32
        .size:           4
        .value_kind:     hidden_block_count_z
      - .offset:         36
        .size:           2
        .value_kind:     hidden_group_size_x
      - .offset:         38
        .size:           2
        .value_kind:     hidden_group_size_y
      - .offset:         40
        .size:           2
        .value_kind:     hidden_group_size_z
      - .offset:         42
        .size:           2
        .value_kind:     hidden_remainder_x
      - .offset:         44
        .size:           2
        .value_kind:     hidden_remainder_y
      - .offset:         46
        .size:           2
        .value_kind:     hidden_remainder_z
      - .offset:         64
        .size:           8
        .value_kind:     hidden_global_offset_x
      - .offset:         72
        .size:           8
        .value_kind:     hidden_global_offset_y
      - .offset:         80
        .size:           8
        .value_kind:     hidden_global_offset_z
      - .offset:         88
        .size:           2
        .value_kind:     hidden_grid_dims
    .group_segment_fixed_size: 0
    .kernarg_segment_align: 8
    .kernarg_segment_size: 280
    .language:       OpenCL C
    .language_version:
      - 2
      - 0
    .max_flat_workgroup_size: 1024
    .name:           _Z8sumArrayfiPKfPf
    .private_segment_fixed_size: 0
    .sgpr_count:     21
    .sgpr_spill_count: 0
    .symbol:         _Z8sumArrayfiPKfPf.kd
    .uniform_work_group_size: 1
    .uses_dynamic_stack: false
    .vgpr_count:     6
    .vgpr_spill_count: 0
    .wavefront_size: 64
  - .agpr_count:     0
    .args:
      - .offset:         0
        .size:           4
        .value_kind:     by_value
      - .offset:         4
        .size:           4
        .value_kind:     by_value
      - .actual_access:  read_only
        .address_space:  global
        .offset:         8
        .size:           8
        .value_kind:     global_buffer
      - .actual_access:  write_only
        .address_space:  global
        .offset:         16
        .size:           8
        .value_kind:     global_buffer
      - .actual_access:  read_only
        .address_space:  global
        .offset:         24
        .size:           8
        .value_kind:     global_buffer
      - .offset:         32
        .size:           4
        .value_kind:     hidden_block_count_x
      - .offset:         36
        .size:           4
        .value_kind:     hidden_block_count_y
      - .offset:         40
        .size:           4
        .value_kind:     hidden_block_count_z
      - .offset:         44
        .size:           2
        .value_kind:     hidden_group_size_x
      - .offset:         46
        .size:           2
        .value_kind:     hidden_group_size_y
      - .offset:         48
        .size:           2
        .value_kind:     hidden_group_size_z
      - .offset:         50
        .size:           2
        .value_kind:     hidden_remainder_x
      - .offset:         52
        .size:           2
        .value_kind:     hidden_remainder_y
      - .offset:         54
        .size:           2
        .value_kind:     hidden_remainder_z
      - .offset:         72
        .size:           8
        .value_kind:     hidden_global_offset_x
      - .offset:         80
        .size:           8
        .value_kind:     hidden_global_offset_y
      - .offset:         88
        .size:           8
        .value_kind:     hidden_global_offset_z
      - .offset:         96
        .size:           2
        .value_kind:     hidden_grid_dims
    .group_segment_fixed_size: 0
    .kernarg_segment_align: 8
    .kernarg_segment_size: 288
    .language:       OpenCL C
    .language_version:
      - 2
      - 0
    .max_flat_workgroup_size: 1024
    .name:           _Z9sumArraysiiPKfPfS0_
    .private_segment_fixed_size: 0
    .sgpr_count:     26
    .sgpr_spill_count: 0
    .symbol:         _Z9sumArraysiiPKfPfS0_.kd
    .uniform_work_group_size: 1
    .uses_dynamic_stack: false
    .vgpr_count:     16
    .vgpr_spill_count: 0
    .wavefront_size: 64
amdhsa.target:   amdgcn-amd-amdhsa--gfx950
amdhsa.version:
  - 1
  - 2
...

	.end_amdgpu_metadata
